;; amdgpu-corpus repo=ROCm/rocFFT kind=compiled arch=gfx950 opt=O3
	.text
	.amdgcn_target "amdgcn-amd-amdhsa--gfx950"
	.amdhsa_code_object_version 6
	.protected	bluestein_single_back_len100_dim1_dp_op_CI_CI ; -- Begin function bluestein_single_back_len100_dim1_dp_op_CI_CI
	.globl	bluestein_single_back_len100_dim1_dp_op_CI_CI
	.p2align	8
	.type	bluestein_single_back_len100_dim1_dp_op_CI_CI,@function
bluestein_single_back_len100_dim1_dp_op_CI_CI: ; @bluestein_single_back_len100_dim1_dp_op_CI_CI
; %bb.0:
	s_load_dwordx4 s[16:19], s[0:1], 0x28
	v_mul_u32_u24_e32 v1, 0x199a, v0
	v_lshrrev_b32_e32 v2, 16, v1
	v_mad_u64_u32 v[112:113], s[2:3], s2, 6, v[2:3]
	v_mov_b32_e32 v113, 0
	s_waitcnt lgkmcnt(0)
	v_cmp_gt_u64_e32 vcc, s[16:17], v[112:113]
	s_and_saveexec_b64 s[2:3], vcc
	s_cbranch_execz .LBB0_2
; %bb.1:
	s_load_dwordx4 s[4:7], s[0:1], 0x18
	s_load_dwordx4 s[8:11], s[0:1], 0x0
	v_mul_lo_u16_e32 v1, 10, v2
	v_sub_u16_e32 v136, v0, v1
	v_mov_b32_e32 v4, s18
	s_waitcnt lgkmcnt(0)
	s_load_dwordx4 s[12:15], s[4:5], 0x0
	v_mov_b32_e32 v5, s19
	v_mov_b32_e32 v113, 0xa0
	v_lshlrev_b32_e32 v122, 4, v136
	v_or_b32_e32 v134, 0x50, v136
	s_waitcnt lgkmcnt(0)
	v_mad_u64_u32 v[0:1], s[2:3], s14, v112, 0
	v_mov_b32_e32 v2, v1
	v_mad_u64_u32 v[2:3], s[2:3], s15, v112, v[2:3]
	v_mov_b32_e32 v1, v2
	v_mad_u64_u32 v[2:3], s[2:3], s12, v136, 0
	v_mov_b32_e32 v6, v3
	v_mad_u64_u32 v[6:7], s[2:3], s13, v136, v[6:7]
	v_mov_b32_e32 v3, v6
	v_lshl_add_u64 v[0:1], v[0:1], 4, v[4:5]
	v_lshl_add_u64 v[2:3], v[2:3], 4, v[0:1]
	global_load_dwordx4 v[40:43], v[2:3], off
	v_mad_u64_u32 v[2:3], s[2:3], s12, v113, v[2:3]
	s_mul_i32 s2, s13, 0xa0
	s_nop 0
	v_add_u32_e32 v3, s2, v3
	v_mad_u64_u32 v[4:5], s[4:5], s12, v113, v[2:3]
	v_add_u32_e32 v5, s2, v5
	global_load_dwordx4 v[36:39], v122, s[8:9]
	global_load_dwordx4 v[24:27], v122, s[8:9] offset:160
	global_load_dwordx4 v[48:51], v[2:3], off
	global_load_dwordx4 v[44:47], v[4:5], off
	v_mad_u64_u32 v[2:3], s[4:5], s12, v113, v[4:5]
	v_add_u32_e32 v3, s2, v3
	v_mad_u64_u32 v[4:5], s[4:5], s12, v113, v[2:3]
	global_load_dwordx4 v[32:35], v122, s[8:9] offset:320
	global_load_dwordx4 v[20:23], v122, s[8:9] offset:480
	v_add_u32_e32 v5, s2, v5
	global_load_dwordx4 v[52:55], v[2:3], off
	global_load_dwordx4 v[56:59], v[4:5], off
	v_mad_u64_u32 v[2:3], s[4:5], s12, v113, v[4:5]
	v_add_u32_e32 v3, s2, v3
	global_load_dwordx4 v[60:63], v[2:3], off
	global_load_dwordx4 v[28:31], v122, s[8:9] offset:640
	global_load_dwordx4 v[12:15], v122, s[8:9] offset:800
	v_mad_u64_u32 v[2:3], s[4:5], s12, v113, v[2:3]
	v_add_u32_e32 v3, s2, v3
	global_load_dwordx4 v[64:67], v[2:3], off
	v_mad_u64_u32 v[2:3], s[4:5], s12, v113, v[2:3]
	v_add_u32_e32 v3, s2, v3
	v_mad_u64_u32 v[8:9], s[2:3], s12, v134, 0
	v_mov_b32_e32 v10, v9
	global_load_dwordx4 v[68:71], v[2:3], off
	global_load_dwordx4 v[16:19], v122, s[8:9] offset:960
	global_load_dwordx4 v[4:7], v122, s[8:9] offset:1120
	v_mad_u64_u32 v[10:11], s[2:3], s13, v134, v[10:11]
	v_mov_b32_e32 v9, v10
	v_lshl_add_u64 v[0:1], v[8:9], 4, v[0:1]
	v_mov_b32_e32 v135, 0x140
	global_load_dwordx4 v[72:75], v[0:1], off
	global_load_dwordx4 v[8:11], v122, s[8:9] offset:1280
	v_mad_u64_u32 v[80:81], s[2:3], s12, v135, v[2:3]
	s_mul_i32 s2, s13, 0x140
	s_nop 0
	v_add_u32_e32 v81, s2, v81
	global_load_dwordx4 v[0:3], v122, s[8:9] offset:1440
	global_load_dwordx4 v[76:79], v[80:81], off
	s_mov_b32 s2, 0xaaaaaaab
	v_mul_hi_u32 v80, v112, s2
	v_lshrrev_b32_e32 v80, 2, v80
	v_mul_lo_u32 v80, v80, 6
	v_sub_u32_e32 v80, v112, v80
	v_mul_u32_u24_e32 v80, 0x64, v80
	v_lshlrev_b32_e32 v80, 4, v80
	v_add_u32_e32 v137, v122, v80
	s_load_dwordx4 s[4:7], s[6:7], 0x0
	s_mov_b32 s12, 0x134454ff
	s_mov_b32 s13, 0x3fee6f0e
	;; [unrolled: 1-line block ×16, first 2 shown]
	s_movk_i32 s26, 0x90
	s_load_dwordx2 s[0:1], s[0:1], 0x38
	s_waitcnt vmcnt(18)
	v_mul_f64 v[82:83], v[42:43], v[38:39]
	v_mul_f64 v[84:85], v[40:41], v[38:39]
	v_fmac_f64_e32 v[82:83], v[40:41], v[36:37]
	v_fma_f64 v[84:85], v[42:43], v[36:37], -v[84:85]
	s_waitcnt vmcnt(16)
	v_mul_f64 v[40:41], v[50:51], v[26:27]
	v_mul_f64 v[42:43], v[48:49], v[26:27]
	v_fmac_f64_e32 v[40:41], v[48:49], v[24:25]
	v_fma_f64 v[42:43], v[50:51], v[24:25], -v[42:43]
	ds_write_b128 v137, v[40:43] offset:160
	s_waitcnt vmcnt(14)
	v_mul_f64 v[40:41], v[46:47], v[34:35]
	v_mul_f64 v[42:43], v[44:45], v[34:35]
	v_fmac_f64_e32 v[40:41], v[44:45], v[32:33]
	v_fma_f64 v[42:43], v[46:47], v[32:33], -v[42:43]
	ds_write_b128 v137, v[40:43] offset:320
	;; [unrolled: 6-line block ×8, first 2 shown]
	s_waitcnt vmcnt(0)
	v_mul_f64 v[40:41], v[78:79], v[2:3]
	v_mul_f64 v[42:43], v[76:77], v[2:3]
	v_fmac_f64_e32 v[40:41], v[76:77], v[0:1]
	v_fma_f64 v[42:43], v[78:79], v[0:1], -v[42:43]
	ds_write_b128 v137, v[82:85]
	ds_write_b128 v137, v[40:43] offset:1440
	s_waitcnt lgkmcnt(0)
	; wave barrier
	s_waitcnt lgkmcnt(0)
	ds_read_b128 v[40:43], v137
	ds_read_b128 v[44:47], v137 offset:160
	ds_read_b128 v[82:85], v137 offset:320
	;; [unrolled: 1-line block ×9, first 2 shown]
	s_waitcnt lgkmcnt(7)
	v_add_f64 v[64:65], v[40:41], v[82:83]
	s_waitcnt lgkmcnt(5)
	v_add_f64 v[64:65], v[64:65], v[86:87]
	;; [unrolled: 2-line block ×4, first 2 shown]
	v_add_f64 v[64:65], v[86:87], v[90:91]
	v_fma_f64 v[66:67], -0.5, v[64:65], v[40:41]
	v_add_f64 v[64:65], v[84:85], -v[96:97]
	v_fma_f64 v[70:71], s[12:13], v[64:65], v[66:67]
	v_add_f64 v[72:73], v[88:89], -v[92:93]
	v_add_f64 v[74:75], v[82:83], -v[86:87]
	;; [unrolled: 1-line block ×3, first 2 shown]
	v_fmac_f64_e32 v[66:67], s[16:17], v[64:65]
	v_fmac_f64_e32 v[70:71], s[2:3], v[72:73]
	v_add_f64 v[74:75], v[74:75], v[76:77]
	v_fmac_f64_e32 v[66:67], s[18:19], v[72:73]
	v_fmac_f64_e32 v[70:71], s[14:15], v[74:75]
	;; [unrolled: 1-line block ×3, first 2 shown]
	v_add_f64 v[74:75], v[82:83], v[94:95]
	v_fmac_f64_e32 v[40:41], -0.5, v[74:75]
	v_fma_f64 v[76:77], s[16:17], v[72:73], v[40:41]
	v_fmac_f64_e32 v[40:41], s[12:13], v[72:73]
	v_fmac_f64_e32 v[76:77], s[2:3], v[64:65]
	;; [unrolled: 1-line block ×3, first 2 shown]
	v_add_f64 v[64:65], v[42:43], v[84:85]
	v_add_f64 v[64:65], v[64:65], v[88:89]
	v_add_f64 v[64:65], v[64:65], v[92:93]
	v_add_f64 v[74:75], v[86:87], -v[82:83]
	v_add_f64 v[78:79], v[90:91], -v[94:95]
	v_add_f64 v[72:73], v[64:65], v[96:97]
	v_add_f64 v[64:65], v[88:89], v[92:93]
	;; [unrolled: 1-line block ×3, first 2 shown]
	v_fma_f64 v[64:65], -0.5, v[64:65], v[42:43]
	v_add_f64 v[82:83], v[82:83], -v[94:95]
	v_fmac_f64_e32 v[76:77], s[14:15], v[74:75]
	v_fmac_f64_e32 v[40:41], s[14:15], v[74:75]
	v_fma_f64 v[74:75], s[16:17], v[82:83], v[64:65]
	v_add_f64 v[86:87], v[86:87], -v[90:91]
	v_add_f64 v[78:79], v[84:85], -v[88:89]
	;; [unrolled: 1-line block ×3, first 2 shown]
	v_fmac_f64_e32 v[64:65], s[12:13], v[82:83]
	v_fmac_f64_e32 v[74:75], s[18:19], v[86:87]
	v_add_f64 v[78:79], v[78:79], v[90:91]
	v_fmac_f64_e32 v[64:65], s[2:3], v[86:87]
	v_fmac_f64_e32 v[74:75], s[14:15], v[78:79]
	;; [unrolled: 1-line block ×3, first 2 shown]
	v_add_f64 v[78:79], v[84:85], v[96:97]
	v_fmac_f64_e32 v[42:43], -0.5, v[78:79]
	v_fma_f64 v[78:79], s[12:13], v[86:87], v[42:43]
	v_fmac_f64_e32 v[42:43], s[16:17], v[86:87]
	v_fmac_f64_e32 v[78:79], s[18:19], v[82:83]
	;; [unrolled: 1-line block ×3, first 2 shown]
	v_add_f64 v[82:83], v[44:45], v[48:49]
	v_add_f64 v[82:83], v[82:83], v[52:53]
	v_add_f64 v[84:85], v[88:89], -v[84:85]
	v_add_f64 v[88:89], v[92:93], -v[96:97]
	v_add_f64 v[82:83], v[82:83], v[56:57]
	v_add_f64 v[84:85], v[84:85], v[88:89]
	s_waitcnt lgkmcnt(0)
	v_add_f64 v[86:87], v[82:83], v[60:61]
	v_add_f64 v[82:83], v[52:53], v[56:57]
	v_fmac_f64_e32 v[78:79], s[14:15], v[84:85]
	v_fmac_f64_e32 v[42:43], s[14:15], v[84:85]
	v_fma_f64 v[84:85], -0.5, v[82:83], v[44:45]
	v_add_f64 v[82:83], v[50:51], -v[62:63]
	v_fma_f64 v[88:89], s[12:13], v[82:83], v[84:85]
	v_add_f64 v[90:91], v[54:55], -v[58:59]
	v_add_f64 v[92:93], v[48:49], -v[52:53]
	;; [unrolled: 1-line block ×3, first 2 shown]
	v_fmac_f64_e32 v[84:85], s[16:17], v[82:83]
	v_fmac_f64_e32 v[88:89], s[2:3], v[90:91]
	v_add_f64 v[92:93], v[92:93], v[94:95]
	v_fmac_f64_e32 v[84:85], s[18:19], v[90:91]
	v_fmac_f64_e32 v[88:89], s[14:15], v[92:93]
	;; [unrolled: 1-line block ×3, first 2 shown]
	v_add_f64 v[92:93], v[48:49], v[60:61]
	v_fmac_f64_e32 v[44:45], -0.5, v[92:93]
	v_fma_f64 v[92:93], s[16:17], v[90:91], v[44:45]
	v_fmac_f64_e32 v[44:45], s[12:13], v[90:91]
	v_fmac_f64_e32 v[92:93], s[2:3], v[82:83]
	;; [unrolled: 1-line block ×3, first 2 shown]
	v_add_f64 v[82:83], v[46:47], v[50:51]
	v_add_f64 v[82:83], v[82:83], v[54:55]
	v_add_f64 v[94:95], v[52:53], -v[48:49]
	v_add_f64 v[96:97], v[56:57], -v[60:61]
	v_add_f64 v[82:83], v[82:83], v[58:59]
	v_add_f64 v[94:95], v[94:95], v[96:97]
	;; [unrolled: 1-line block ×4, first 2 shown]
	v_fmac_f64_e32 v[92:93], s[14:15], v[94:95]
	v_fmac_f64_e32 v[44:45], s[14:15], v[94:95]
	v_fma_f64 v[94:95], -0.5, v[82:83], v[46:47]
	v_add_f64 v[48:49], v[48:49], -v[60:61]
	v_fma_f64 v[96:97], s[16:17], v[48:49], v[94:95]
	v_add_f64 v[52:53], v[52:53], -v[56:57]
	v_add_f64 v[56:57], v[50:51], -v[54:55]
	;; [unrolled: 1-line block ×3, first 2 shown]
	v_fmac_f64_e32 v[94:95], s[12:13], v[48:49]
	v_fmac_f64_e32 v[96:97], s[18:19], v[52:53]
	v_add_f64 v[56:57], v[56:57], v[60:61]
	v_fmac_f64_e32 v[94:95], s[2:3], v[52:53]
	v_fmac_f64_e32 v[96:97], s[14:15], v[56:57]
	;; [unrolled: 1-line block ×3, first 2 shown]
	v_add_f64 v[56:57], v[50:51], v[62:63]
	v_fmac_f64_e32 v[46:47], -0.5, v[56:57]
	v_fma_f64 v[98:99], s[12:13], v[52:53], v[46:47]
	v_add_f64 v[50:51], v[54:55], -v[50:51]
	v_add_f64 v[54:55], v[58:59], -v[62:63]
	v_fmac_f64_e32 v[46:47], s[16:17], v[52:53]
	v_fmac_f64_e32 v[98:99], s[18:19], v[48:49]
	v_add_f64 v[50:51], v[50:51], v[54:55]
	v_fmac_f64_e32 v[46:47], s[2:3], v[48:49]
	v_mul_f64 v[106:107], v[84:85], s[20:21]
	v_fmac_f64_e32 v[98:99], s[14:15], v[50:51]
	v_fmac_f64_e32 v[46:47], s[14:15], v[50:51]
	v_mul_f64 v[100:101], v[88:89], s[24:25]
	v_fmac_f64_e32 v[106:107], s[2:3], v[94:95]
	v_mul_f64 v[88:89], v[88:89], s[18:19]
	v_mul_f64 v[94:95], v[94:95], s[20:21]
	v_fmac_f64_e32 v[100:101], s[2:3], v[96:97]
	v_mul_f64 v[102:103], v[98:99], s[12:13]
	;; [unrolled: 3-line block ×3, first 2 shown]
	v_fmac_f64_e32 v[94:95], s[18:19], v[84:85]
	v_add_f64 v[56:57], v[68:69], v[86:87]
	v_add_f64 v[52:53], v[70:71], v[100:101]
	v_fmac_f64_e32 v[102:103], s[14:15], v[92:93]
	v_fmac_f64_e32 v[104:105], s[12:13], v[46:47]
	v_add_f64 v[54:55], v[74:75], v[88:89]
	v_mul_f64 v[92:93], v[92:93], s[16:17]
	v_fmac_f64_e32 v[96:97], s[16:17], v[44:45]
	v_add_f64 v[84:85], v[64:65], v[94:95]
	v_add_f64 v[44:45], v[68:69], -v[86:87]
	v_add_f64 v[68:69], v[70:71], -v[100:101]
	;; [unrolled: 1-line block ×4, first 2 shown]
	v_mul_lo_u16_e32 v64, 10, v136
	v_add_f64 v[60:61], v[40:41], v[104:105]
	v_add_f64 v[58:59], v[72:73], v[90:91]
	v_fmac_f64_e32 v[92:93], s[14:15], v[98:99]
	v_add_f64 v[40:41], v[40:41], -v[104:105]
	v_lshl_add_u32 v138, v64, 4, v80
	v_add_f64 v[48:49], v[76:77], v[102:103]
	v_add_f64 v[82:83], v[66:67], v[106:107]
	;; [unrolled: 1-line block ×4, first 2 shown]
	v_add_f64 v[76:77], v[76:77], -v[102:103]
	v_add_f64 v[86:87], v[66:67], -v[106:107]
	;; [unrolled: 1-line block ×5, first 2 shown]
	s_waitcnt lgkmcnt(0)
	; wave barrier
	ds_write_b128 v138, v[56:59]
	ds_write_b128 v138, v[52:55] offset:16
	ds_write_b128 v138, v[48:51] offset:32
	;; [unrolled: 1-line block ×9, first 2 shown]
	v_mov_b64_e32 v[40:41], s[10:11]
	v_mad_u64_u32 v[76:77], s[10:11], v136, s26, v[40:41]
	s_waitcnt lgkmcnt(0)
	; wave barrier
	s_waitcnt lgkmcnt(0)
	global_load_dwordx4 v[52:55], v[76:77], off
	global_load_dwordx4 v[48:51], v[76:77], off offset:16
	global_load_dwordx4 v[44:47], v[76:77], off offset:32
	;; [unrolled: 1-line block ×8, first 2 shown]
	ds_read_b128 v[76:79], v137
	ds_read_b128 v[80:83], v137 offset:160
	ds_read_b128 v[84:87], v137 offset:320
	;; [unrolled: 1-line block ×9, first 2 shown]
	s_waitcnt vmcnt(8) lgkmcnt(8)
	v_mul_f64 v[88:89], v[82:83], v[54:55]
	v_fma_f64 v[94:95], v[80:81], v[52:53], -v[88:89]
	v_mul_f64 v[98:99], v[80:81], v[54:55]
	s_waitcnt vmcnt(7) lgkmcnt(7)
	v_mul_f64 v[80:81], v[86:87], v[50:51]
	v_fma_f64 v[128:129], v[84:85], v[48:49], -v[80:81]
	v_mul_f64 v[130:131], v[84:85], v[50:51]
	s_waitcnt vmcnt(6) lgkmcnt(6)
	v_mul_f64 v[80:81], v[92:93], v[46:47]
	s_waitcnt vmcnt(3) lgkmcnt(3)
	v_mul_f64 v[84:85], v[110:111], v[66:67]
	v_fmac_f64_e32 v[98:99], v[82:83], v[52:53]
	v_fmac_f64_e32 v[130:131], v[86:87], v[48:49]
	v_fma_f64 v[88:89], v[90:91], v[44:45], -v[80:81]
	v_mul_f64 v[80:81], v[90:91], v[46:47]
	v_mul_f64 v[82:83], v[102:103], v[42:43]
	v_fma_f64 v[142:143], v[108:109], v[64:65], -v[84:85]
	s_waitcnt vmcnt(2) lgkmcnt(2)
	v_mul_f64 v[84:85], v[116:117], v[62:63]
	s_waitcnt vmcnt(1) lgkmcnt(1)
	v_mul_f64 v[86:87], v[120:121], v[58:59]
	v_fmac_f64_e32 v[80:81], v[92:93], v[44:45]
	v_fma_f64 v[132:133], v[100:101], v[40:41], -v[82:83]
	v_mul_f64 v[140:141], v[100:101], v[42:43]
	v_fma_f64 v[92:93], v[114:115], v[60:61], -v[84:85]
	v_mul_f64 v[84:85], v[114:115], v[62:63]
	;; [unrolled: 2-line block ×3, first 2 shown]
	v_fmac_f64_e32 v[140:141], v[102:103], v[40:41]
	v_mul_f64 v[82:83], v[106:107], v[70:71]
	v_mul_f64 v[144:145], v[108:109], v[66:67]
	v_fmac_f64_e32 v[118:119], v[120:121], v[56:57]
	v_add_f64 v[102:103], v[132:133], v[142:143]
	v_fma_f64 v[90:91], v[104:105], v[68:69], -v[82:83]
	v_mul_f64 v[82:83], v[104:105], v[70:71]
	v_fmac_f64_e32 v[144:145], v[110:111], v[64:65]
	v_fma_f64 v[102:103], -0.5, v[102:103], v[76:77]
	v_add_f64 v[104:105], v[130:131], -v[118:119]
	v_fmac_f64_e32 v[82:83], v[106:107], v[68:69]
	v_fmac_f64_e32 v[84:85], v[116:117], v[60:61]
	v_fma_f64 v[106:107], s[12:13], v[104:105], v[102:103]
	v_add_f64 v[108:109], v[140:141], -v[144:145]
	v_add_f64 v[110:111], v[128:129], -v[132:133]
	;; [unrolled: 1-line block ×3, first 2 shown]
	v_fmac_f64_e32 v[102:103], s[16:17], v[104:105]
	v_fmac_f64_e32 v[106:107], s[2:3], v[108:109]
	v_add_f64 v[110:111], v[110:111], v[116:117]
	v_fmac_f64_e32 v[102:103], s[18:19], v[108:109]
	v_fmac_f64_e32 v[106:107], s[14:15], v[110:111]
	;; [unrolled: 1-line block ×3, first 2 shown]
	v_add_f64 v[110:111], v[128:129], v[114:115]
	v_add_f64 v[100:101], v[76:77], v[128:129]
	v_fmac_f64_e32 v[76:77], -0.5, v[110:111]
	v_fma_f64 v[110:111], s[16:17], v[108:109], v[76:77]
	v_fmac_f64_e32 v[76:77], s[12:13], v[108:109]
	v_fmac_f64_e32 v[110:111], s[2:3], v[104:105]
	;; [unrolled: 1-line block ×3, first 2 shown]
	v_add_f64 v[104:105], v[78:79], v[130:131]
	v_add_f64 v[104:105], v[104:105], v[140:141]
	;; [unrolled: 1-line block ×3, first 2 shown]
	s_waitcnt vmcnt(0) lgkmcnt(0)
	v_mul_f64 v[86:87], v[126:127], v[74:75]
	v_add_f64 v[100:101], v[100:101], v[132:133]
	v_add_f64 v[116:117], v[132:133], -v[128:129]
	v_add_f64 v[120:121], v[142:143], -v[114:115]
	v_add_f64 v[108:109], v[104:105], v[118:119]
	v_add_f64 v[104:105], v[140:141], v[144:145]
	v_fma_f64 v[96:97], v[124:125], v[72:73], -v[86:87]
	v_mul_f64 v[86:87], v[124:125], v[74:75]
	v_add_f64 v[100:101], v[100:101], v[142:143]
	v_add_f64 v[116:117], v[116:117], v[120:121]
	v_fma_f64 v[104:105], -0.5, v[104:105], v[78:79]
	v_add_f64 v[120:121], v[128:129], -v[114:115]
	v_fmac_f64_e32 v[86:87], v[126:127], v[72:73]
	v_add_f64 v[100:101], v[100:101], v[114:115]
	v_fmac_f64_e32 v[110:111], s[14:15], v[116:117]
	v_fmac_f64_e32 v[76:77], s[14:15], v[116:117]
	v_fma_f64 v[114:115], s[16:17], v[120:121], v[104:105]
	v_add_f64 v[124:125], v[132:133], -v[142:143]
	v_add_f64 v[116:117], v[130:131], -v[140:141]
	;; [unrolled: 1-line block ×3, first 2 shown]
	v_fmac_f64_e32 v[104:105], s[12:13], v[120:121]
	v_fmac_f64_e32 v[114:115], s[18:19], v[124:125]
	v_add_f64 v[116:117], v[116:117], v[126:127]
	v_fmac_f64_e32 v[104:105], s[2:3], v[124:125]
	v_fmac_f64_e32 v[114:115], s[14:15], v[116:117]
	;; [unrolled: 1-line block ×3, first 2 shown]
	v_add_f64 v[116:117], v[130:131], v[118:119]
	v_fmac_f64_e32 v[78:79], -0.5, v[116:117]
	v_fma_f64 v[116:117], s[12:13], v[124:125], v[78:79]
	v_fmac_f64_e32 v[78:79], s[16:17], v[124:125]
	v_fmac_f64_e32 v[116:117], s[18:19], v[120:121]
	;; [unrolled: 1-line block ×3, first 2 shown]
	v_add_f64 v[120:121], v[90:91], v[92:93]
	v_add_f64 v[126:127], v[140:141], -v[130:131]
	v_add_f64 v[118:119], v[144:145], -v[118:119]
	v_fma_f64 v[120:121], -0.5, v[120:121], v[94:95]
	v_add_f64 v[124:125], v[80:81], -v[86:87]
	v_add_f64 v[118:119], v[126:127], v[118:119]
	v_fma_f64 v[126:127], s[12:13], v[124:125], v[120:121]
	v_add_f64 v[128:129], v[82:83], -v[84:85]
	v_add_f64 v[130:131], v[88:89], -v[90:91]
	v_add_f64 v[132:133], v[96:97], -v[92:93]
	v_fmac_f64_e32 v[120:121], s[16:17], v[124:125]
	v_fmac_f64_e32 v[126:127], s[2:3], v[128:129]
	v_add_f64 v[130:131], v[130:131], v[132:133]
	v_fmac_f64_e32 v[120:121], s[18:19], v[128:129]
	v_fmac_f64_e32 v[126:127], s[14:15], v[130:131]
	;; [unrolled: 1-line block ×3, first 2 shown]
	v_add_f64 v[130:131], v[88:89], v[96:97]
	v_fmac_f64_e32 v[116:117], s[14:15], v[118:119]
	v_fmac_f64_e32 v[78:79], s[14:15], v[118:119]
	v_add_f64 v[118:119], v[94:95], v[88:89]
	v_fmac_f64_e32 v[94:95], -0.5, v[130:131]
	v_fma_f64 v[130:131], s[16:17], v[128:129], v[94:95]
	v_fmac_f64_e32 v[94:95], s[12:13], v[128:129]
	v_fmac_f64_e32 v[130:131], s[2:3], v[124:125]
	v_fmac_f64_e32 v[94:95], s[18:19], v[124:125]
	v_add_f64 v[124:125], v[98:99], v[80:81]
	v_add_f64 v[124:125], v[124:125], v[82:83]
	v_add_f64 v[124:125], v[124:125], v[84:85]
	v_add_f64 v[118:119], v[118:119], v[90:91]
	v_add_f64 v[132:133], v[90:91], -v[88:89]
	v_add_f64 v[140:141], v[92:93], -v[96:97]
	v_add_f64 v[128:129], v[124:125], v[86:87]
	v_add_f64 v[124:125], v[82:83], v[84:85]
	;; [unrolled: 1-line block ×4, first 2 shown]
	v_fma_f64 v[124:125], -0.5, v[124:125], v[98:99]
	v_add_f64 v[88:89], v[88:89], -v[96:97]
	v_add_f64 v[118:119], v[118:119], v[96:97]
	v_fmac_f64_e32 v[130:131], s[14:15], v[132:133]
	v_fmac_f64_e32 v[94:95], s[14:15], v[132:133]
	v_fma_f64 v[132:133], s[16:17], v[88:89], v[124:125]
	v_add_f64 v[90:91], v[90:91], -v[92:93]
	v_add_f64 v[92:93], v[80:81], -v[82:83]
	;; [unrolled: 1-line block ×3, first 2 shown]
	v_fmac_f64_e32 v[124:125], s[12:13], v[88:89]
	v_fmac_f64_e32 v[132:133], s[18:19], v[90:91]
	v_add_f64 v[92:93], v[92:93], v[96:97]
	v_fmac_f64_e32 v[124:125], s[2:3], v[90:91]
	v_fmac_f64_e32 v[132:133], s[14:15], v[92:93]
	;; [unrolled: 1-line block ×3, first 2 shown]
	v_add_f64 v[92:93], v[80:81], v[86:87]
	v_fmac_f64_e32 v[98:99], -0.5, v[92:93]
	v_fma_f64 v[140:141], s[12:13], v[90:91], v[98:99]
	v_add_f64 v[80:81], v[82:83], -v[80:81]
	v_add_f64 v[82:83], v[84:85], -v[86:87]
	v_fmac_f64_e32 v[140:141], s[18:19], v[88:89]
	v_add_f64 v[80:81], v[80:81], v[82:83]
	v_fmac_f64_e32 v[98:99], s[16:17], v[90:91]
	v_fmac_f64_e32 v[140:141], s[14:15], v[80:81]
	;; [unrolled: 1-line block ×3, first 2 shown]
	v_mul_f64 v[142:143], v[132:133], s[2:3]
	v_fmac_f64_e32 v[98:99], s[14:15], v[80:81]
	v_fmac_f64_e32 v[142:143], s[24:25], v[126:127]
	v_mul_f64 v[144:145], v[140:141], s[12:13]
	v_mul_f64 v[126:127], v[126:127], s[18:19]
	v_fmac_f64_e32 v[144:145], s[14:15], v[130:131]
	v_mul_f64 v[146:147], v[94:95], s[22:23]
	v_fmac_f64_e32 v[126:127], s[24:25], v[132:133]
	v_mul_f64 v[130:131], v[130:131], s[16:17]
	v_mul_f64 v[132:133], v[98:99], s[22:23]
	v_fmac_f64_e32 v[146:147], s[12:13], v[98:99]
	v_mul_f64 v[148:149], v[120:121], s[20:21]
	v_fmac_f64_e32 v[130:131], s[14:15], v[140:141]
	v_fmac_f64_e32 v[132:133], s[16:17], v[94:95]
	v_mul_f64 v[140:141], v[124:125], s[20:21]
	v_add_f64 v[88:89], v[100:101], v[118:119]
	v_add_f64 v[96:97], v[76:77], v[146:147]
	v_fmac_f64_e32 v[148:149], s[2:3], v[124:125]
	v_add_f64 v[90:91], v[108:109], v[128:129]
	v_add_f64 v[98:99], v[78:79], v[132:133]
	v_fmac_f64_e32 v[140:141], s[18:19], v[120:121]
	v_add_f64 v[76:77], v[76:77], -v[146:147]
	v_add_f64 v[78:79], v[78:79], -v[132:133]
	v_add_f64 v[84:85], v[106:107], v[142:143]
	v_add_f64 v[80:81], v[110:111], v[144:145]
	v_add_f64 v[92:93], v[102:103], v[148:149]
	v_add_f64 v[86:87], v[114:115], v[126:127]
	v_add_f64 v[82:83], v[116:117], v[130:131]
	v_add_f64 v[94:95], v[104:105], v[140:141]
	v_add_f64 v[118:119], v[100:101], -v[118:119]
	v_add_f64 v[106:107], v[106:107], -v[142:143]
	;; [unrolled: 1-line block ×8, first 2 shown]
	ds_write_b128 v137, v[88:91]
	ds_write_b128 v137, v[84:87] offset:160
	ds_write_b128 v137, v[80:83] offset:320
	;; [unrolled: 1-line block ×9, first 2 shown]
	s_waitcnt lgkmcnt(0)
	; wave barrier
	s_waitcnt lgkmcnt(0)
	global_load_dwordx4 v[76:79], v122, s[8:9] offset:1600
	s_add_u32 s8, s8, 0x640
	s_addc_u32 s9, s9, 0
	global_load_dwordx4 v[80:83], v122, s[8:9] offset:160
	global_load_dwordx4 v[84:87], v122, s[8:9] offset:320
	;; [unrolled: 1-line block ×9, first 2 shown]
	ds_read_b128 v[120:123], v137
	ds_read_b128 v[128:131], v137 offset:160
	v_mov_b32_e32 v114, s0
	v_mov_b32_e32 v115, s1
	v_mad_u64_u32 v[116:117], s[0:1], s6, v112, 0
	v_mov_b32_e32 v118, v117
	s_waitcnt vmcnt(9) lgkmcnt(1)
	v_mul_f64 v[132:133], v[122:123], v[78:79]
	v_mul_f64 v[142:143], v[120:121], v[78:79]
	v_fma_f64 v[140:141], v[120:121], v[76:77], -v[132:133]
	v_fmac_f64_e32 v[142:143], v[122:123], v[76:77]
	s_waitcnt vmcnt(8) lgkmcnt(0)
	v_mul_f64 v[76:77], v[130:131], v[82:83]
	ds_read_b128 v[120:123], v137 offset:320
	v_mul_f64 v[78:79], v[128:129], v[82:83]
	v_fma_f64 v[76:77], v[128:129], v[80:81], -v[76:77]
	v_fmac_f64_e32 v[78:79], v[130:131], v[80:81]
	ds_write_b128 v137, v[76:79] offset:160
	ds_read_b128 v[76:79], v137 offset:480
	s_waitcnt vmcnt(7) lgkmcnt(2)
	v_mul_f64 v[80:81], v[122:123], v[86:87]
	v_mul_f64 v[82:83], v[120:121], v[86:87]
	v_fma_f64 v[80:81], v[120:121], v[84:85], -v[80:81]
	v_fmac_f64_e32 v[82:83], v[122:123], v[84:85]
	ds_read_b128 v[84:87], v137 offset:640
	ds_write_b128 v137, v[80:83] offset:320
	s_waitcnt vmcnt(6) lgkmcnt(2)
	v_mul_f64 v[80:81], v[78:79], v[90:91]
	v_mul_f64 v[82:83], v[76:77], v[90:91]
	v_fma_f64 v[80:81], v[76:77], v[88:89], -v[80:81]
	v_fmac_f64_e32 v[82:83], v[78:79], v[88:89]
	ds_read_b128 v[76:79], v137 offset:800
	ds_write_b128 v137, v[80:83] offset:480
	s_waitcnt vmcnt(5) lgkmcnt(3)
	v_mul_f64 v[80:81], v[86:87], v[94:95]
	v_mul_f64 v[82:83], v[84:85], v[94:95]
	v_fma_f64 v[80:81], v[84:85], v[92:93], -v[80:81]
	v_fmac_f64_e32 v[82:83], v[86:87], v[92:93]
	ds_read_b128 v[84:87], v137 offset:960
	ds_write_b128 v137, v[80:83] offset:640
	s_waitcnt vmcnt(4) lgkmcnt(3)
	v_mul_f64 v[80:81], v[78:79], v[98:99]
	v_mul_f64 v[82:83], v[76:77], v[98:99]
	v_fma_f64 v[80:81], v[76:77], v[96:97], -v[80:81]
	v_fmac_f64_e32 v[82:83], v[78:79], v[96:97]
	ds_read_b128 v[76:79], v137 offset:1120
	ds_write_b128 v137, v[80:83] offset:800
	s_waitcnt vmcnt(3) lgkmcnt(3)
	v_mul_f64 v[80:81], v[86:87], v[102:103]
	v_mul_f64 v[82:83], v[84:85], v[102:103]
	v_fma_f64 v[80:81], v[84:85], v[100:101], -v[80:81]
	v_fmac_f64_e32 v[82:83], v[86:87], v[100:101]
	ds_read_b128 v[84:87], v137 offset:1280
	ds_write_b128 v137, v[80:83] offset:960
	s_waitcnt vmcnt(2) lgkmcnt(3)
	v_mul_f64 v[80:81], v[78:79], v[106:107]
	v_mul_f64 v[82:83], v[76:77], v[106:107]
	v_fma_f64 v[80:81], v[76:77], v[104:105], -v[80:81]
	v_fmac_f64_e32 v[82:83], v[78:79], v[104:105]
	ds_read_b128 v[76:79], v137 offset:1440
	ds_write_b128 v137, v[80:83] offset:1120
	s_waitcnt vmcnt(1) lgkmcnt(3)
	v_mul_f64 v[80:81], v[86:87], v[110:111]
	v_mul_f64 v[82:83], v[84:85], v[110:111]
	v_fma_f64 v[80:81], v[84:85], v[108:109], -v[80:81]
	v_fmac_f64_e32 v[82:83], v[86:87], v[108:109]
	ds_write_b128 v137, v[80:83] offset:1280
	s_waitcnt vmcnt(0) lgkmcnt(2)
	v_mul_f64 v[80:81], v[78:79], v[126:127]
	v_mul_f64 v[82:83], v[76:77], v[126:127]
	v_fma_f64 v[80:81], v[76:77], v[124:125], -v[80:81]
	v_fmac_f64_e32 v[82:83], v[78:79], v[124:125]
	ds_write_b128 v137, v[140:143]
	ds_write_b128 v137, v[80:83] offset:1440
	s_waitcnt lgkmcnt(0)
	; wave barrier
	s_waitcnt lgkmcnt(0)
	ds_read_b128 v[76:79], v137
	ds_read_b128 v[80:83], v137 offset:160
	ds_read_b128 v[100:103], v137 offset:320
	;; [unrolled: 1-line block ×9, first 2 shown]
	s_waitcnt lgkmcnt(5)
	v_add_f64 v[120:121], v[100:101], -v[128:129]
	s_waitcnt lgkmcnt(3)
	v_add_f64 v[106:107], v[128:129], v[140:141]
	v_fma_f64 v[106:107], -0.5, v[106:107], v[76:77]
	s_waitcnt lgkmcnt(1)
	v_add_f64 v[108:109], v[102:103], -v[146:147]
	v_fma_f64 v[122:123], s[16:17], v[108:109], v[106:107]
	v_add_f64 v[110:111], v[130:131], -v[142:143]
	v_add_f64 v[124:125], v[144:145], -v[140:141]
	v_fmac_f64_e32 v[106:107], s[12:13], v[108:109]
	v_fmac_f64_e32 v[122:123], s[18:19], v[110:111]
	v_add_f64 v[120:121], v[120:121], v[124:125]
	v_fmac_f64_e32 v[106:107], s[2:3], v[110:111]
	v_fmac_f64_e32 v[122:123], s[14:15], v[120:121]
	;; [unrolled: 1-line block ×3, first 2 shown]
	v_add_f64 v[120:121], v[100:101], v[144:145]
	v_add_f64 v[104:105], v[76:77], v[100:101]
	v_fmac_f64_e32 v[76:77], -0.5, v[120:121]
	v_fma_f64 v[126:127], s[12:13], v[110:111], v[76:77]
	v_fmac_f64_e32 v[76:77], s[16:17], v[110:111]
	v_fmac_f64_e32 v[126:127], s[18:19], v[108:109]
	v_fmac_f64_e32 v[76:77], s[2:3], v[108:109]
	v_add_f64 v[108:109], v[78:79], v[102:103]
	v_add_f64 v[108:109], v[108:109], v[130:131]
	v_add_f64 v[120:121], v[128:129], -v[100:101]
	v_add_f64 v[124:125], v[140:141], -v[144:145]
	v_add_f64 v[108:109], v[108:109], v[142:143]
	v_add_f64 v[120:121], v[120:121], v[124:125]
	;; [unrolled: 1-line block ×4, first 2 shown]
	v_fmac_f64_e32 v[126:127], s[14:15], v[120:121]
	v_fmac_f64_e32 v[76:77], s[14:15], v[120:121]
	v_fma_f64 v[120:121], -0.5, v[108:109], v[78:79]
	v_add_f64 v[100:101], v[100:101], -v[144:145]
	v_add_f64 v[104:105], v[104:105], v[128:129]
	v_fma_f64 v[124:125], s[12:13], v[100:101], v[120:121]
	v_add_f64 v[108:109], v[128:129], -v[140:141]
	v_add_f64 v[128:129], v[102:103], -v[130:131]
	;; [unrolled: 1-line block ×3, first 2 shown]
	v_fmac_f64_e32 v[120:121], s[16:17], v[100:101]
	v_fmac_f64_e32 v[124:125], s[2:3], v[108:109]
	v_add_f64 v[128:129], v[128:129], v[132:133]
	v_fmac_f64_e32 v[120:121], s[18:19], v[108:109]
	v_fmac_f64_e32 v[124:125], s[14:15], v[128:129]
	;; [unrolled: 1-line block ×3, first 2 shown]
	v_add_f64 v[128:129], v[102:103], v[146:147]
	v_fmac_f64_e32 v[78:79], -0.5, v[128:129]
	v_fma_f64 v[128:129], s[16:17], v[108:109], v[78:79]
	v_fmac_f64_e32 v[78:79], s[12:13], v[108:109]
	v_fmac_f64_e32 v[128:129], s[2:3], v[100:101]
	v_fmac_f64_e32 v[78:79], s[18:19], v[100:101]
	v_add_f64 v[100:101], v[80:81], v[84:85]
	v_add_f64 v[100:101], v[100:101], v[88:89]
	;; [unrolled: 1-line block ×3, first 2 shown]
	v_add_f64 v[102:103], v[130:131], -v[102:103]
	v_add_f64 v[130:131], v[142:143], -v[146:147]
	s_waitcnt lgkmcnt(0)
	v_add_f64 v[108:109], v[100:101], v[96:97]
	v_add_f64 v[100:101], v[88:89], v[92:93]
	;; [unrolled: 1-line block ×3, first 2 shown]
	v_fma_f64 v[130:131], -0.5, v[100:101], v[80:81]
	v_add_f64 v[100:101], v[86:87], -v[98:99]
	v_add_f64 v[104:105], v[104:105], v[140:141]
	v_fmac_f64_e32 v[128:129], s[14:15], v[102:103]
	v_fmac_f64_e32 v[78:79], s[14:15], v[102:103]
	v_fma_f64 v[102:103], s[16:17], v[100:101], v[130:131]
	v_add_f64 v[132:133], v[90:91], -v[94:95]
	v_add_f64 v[140:141], v[84:85], -v[88:89]
	;; [unrolled: 1-line block ×3, first 2 shown]
	v_fmac_f64_e32 v[130:131], s[12:13], v[100:101]
	v_fmac_f64_e32 v[102:103], s[18:19], v[132:133]
	v_add_f64 v[140:141], v[140:141], v[142:143]
	v_fmac_f64_e32 v[130:131], s[2:3], v[132:133]
	v_fmac_f64_e32 v[102:103], s[14:15], v[140:141]
	v_fmac_f64_e32 v[130:131], s[14:15], v[140:141]
	v_add_f64 v[140:141], v[84:85], v[96:97]
	v_fmac_f64_e32 v[80:81], -0.5, v[140:141]
	v_fma_f64 v[140:141], s[12:13], v[132:133], v[80:81]
	v_fmac_f64_e32 v[80:81], s[16:17], v[132:133]
	v_fmac_f64_e32 v[140:141], s[18:19], v[100:101]
	;; [unrolled: 1-line block ×3, first 2 shown]
	v_add_f64 v[100:101], v[82:83], v[86:87]
	v_add_f64 v[100:101], v[100:101], v[90:91]
	;; [unrolled: 1-line block ×3, first 2 shown]
	v_add_f64 v[142:143], v[88:89], -v[84:85]
	v_add_f64 v[144:145], v[92:93], -v[96:97]
	v_add_f64 v[100:101], v[100:101], v[94:95]
	v_add_f64 v[142:143], v[142:143], v[144:145]
	;; [unrolled: 1-line block ×4, first 2 shown]
	v_fmac_f64_e32 v[140:141], s[14:15], v[142:143]
	v_fmac_f64_e32 v[80:81], s[14:15], v[142:143]
	v_fma_f64 v[142:143], -0.5, v[100:101], v[82:83]
	v_add_f64 v[84:85], v[84:85], -v[96:97]
	v_fma_f64 v[144:145], s[12:13], v[84:85], v[142:143]
	v_add_f64 v[88:89], v[88:89], -v[92:93]
	v_add_f64 v[92:93], v[86:87], -v[90:91]
	;; [unrolled: 1-line block ×3, first 2 shown]
	v_fmac_f64_e32 v[142:143], s[16:17], v[84:85]
	v_fmac_f64_e32 v[144:145], s[2:3], v[88:89]
	v_add_f64 v[92:93], v[92:93], v[96:97]
	v_fmac_f64_e32 v[142:143], s[18:19], v[88:89]
	v_fmac_f64_e32 v[144:145], s[14:15], v[92:93]
	;; [unrolled: 1-line block ×3, first 2 shown]
	v_add_f64 v[92:93], v[86:87], v[98:99]
	v_fmac_f64_e32 v[82:83], -0.5, v[92:93]
	v_fma_f64 v[146:147], s[16:17], v[88:89], v[82:83]
	v_add_f64 v[86:87], v[90:91], -v[86:87]
	v_add_f64 v[90:91], v[94:95], -v[98:99]
	v_fmac_f64_e32 v[146:147], s[2:3], v[84:85]
	v_add_f64 v[86:87], v[86:87], v[90:91]
	v_fmac_f64_e32 v[82:83], s[12:13], v[88:89]
	v_fmac_f64_e32 v[146:147], s[14:15], v[86:87]
	;; [unrolled: 1-line block ×3, first 2 shown]
	v_mul_f64 v[156:157], v[102:103], s[2:3]
	v_fmac_f64_e32 v[82:83], s[14:15], v[86:87]
	v_mul_f64 v[148:149], v[144:145], s[18:19]
	v_mul_f64 v[150:151], v[146:147], s[16:17]
	v_fmac_f64_e32 v[156:157], s[24:25], v[144:145]
	v_mul_f64 v[144:145], v[146:147], s[14:15]
	v_fmac_f64_e32 v[150:151], s[14:15], v[140:141]
	v_mul_f64 v[152:153], v[82:83], s[16:17]
	v_mul_f64 v[154:155], v[142:143], s[18:19]
	v_fmac_f64_e32 v[144:145], s[12:13], v[140:141]
	v_mul_f64 v[140:141], v[82:83], s[22:23]
	v_mul_f64 v[142:143], v[142:143], s[20:21]
	v_fmac_f64_e32 v[148:149], s[24:25], v[102:103]
	v_fmac_f64_e32 v[152:153], s[22:23], v[80:81]
	;; [unrolled: 1-line block ×5, first 2 shown]
	v_add_f64 v[92:93], v[104:105], v[108:109]
	v_add_f64 v[88:89], v[122:123], v[148:149]
	;; [unrolled: 1-line block ×10, first 2 shown]
	v_add_f64 v[108:109], v[104:105], -v[108:109]
	v_add_f64 v[104:105], v[122:123], -v[148:149]
	;; [unrolled: 1-line block ×10, first 2 shown]
	s_waitcnt lgkmcnt(0)
	; wave barrier
	ds_write_b128 v138, v[92:95]
	ds_write_b128 v138, v[88:91] offset:16
	ds_write_b128 v138, v[84:87] offset:32
	;; [unrolled: 1-line block ×9, first 2 shown]
	s_waitcnt lgkmcnt(0)
	; wave barrier
	s_waitcnt lgkmcnt(0)
	ds_read_b128 v[76:79], v137
	ds_read_b128 v[82:85], v137 offset:160
	ds_read_b128 v[86:89], v137 offset:320
	;; [unrolled: 1-line block ×9, first 2 shown]
	s_waitcnt lgkmcnt(8)
	v_mul_f64 v[80:81], v[54:55], v[84:85]
	v_mul_f64 v[54:55], v[54:55], v[82:83]
	v_fmac_f64_e32 v[80:81], v[52:53], v[82:83]
	v_fma_f64 v[52:53], v[52:53], v[84:85], -v[54:55]
	s_waitcnt lgkmcnt(7)
	v_mul_f64 v[54:55], v[50:51], v[88:89]
	v_mul_f64 v[50:51], v[50:51], v[86:87]
	v_fmac_f64_e32 v[54:55], v[48:49], v[86:87]
	v_fma_f64 v[84:85], v[48:49], v[88:89], -v[50:51]
	s_waitcnt lgkmcnt(6)
	v_mul_f64 v[86:87], v[46:47], v[92:93]
	v_mul_f64 v[46:47], v[46:47], v[90:91]
	s_waitcnt lgkmcnt(5)
	v_mul_f64 v[88:89], v[42:43], v[96:97]
	v_mul_f64 v[42:43], v[42:43], v[94:95]
	v_fmac_f64_e32 v[86:87], v[44:45], v[90:91]
	v_fma_f64 v[82:83], v[44:45], v[92:93], -v[46:47]
	v_fmac_f64_e32 v[88:89], v[40:41], v[94:95]
	v_fma_f64 v[90:91], v[40:41], v[96:97], -v[42:43]
	s_waitcnt lgkmcnt(4)
	v_mul_f64 v[92:93], v[70:71], v[100:101]
	v_mul_f64 v[40:41], v[70:71], v[98:99]
	v_fmac_f64_e32 v[92:93], v[68:69], v[98:99]
	v_fma_f64 v[68:69], v[68:69], v[100:101], -v[40:41]
	s_waitcnt lgkmcnt(3)
	v_mul_f64 v[70:71], v[66:67], v[104:105]
	v_mul_f64 v[40:41], v[66:67], v[102:103]
	;; [unrolled: 5-line block ×5, first 2 shown]
	v_fmac_f64_e32 v[58:59], v[72:73], v[124:125]
	v_fma_f64 v[72:73], v[72:73], v[126:127], -v[40:41]
	v_add_f64 v[40:41], v[76:77], v[54:55]
	v_add_f64 v[40:41], v[40:41], v[88:89]
	;; [unrolled: 1-line block ×5, first 2 shown]
	v_fma_f64 v[42:43], -0.5, v[40:41], v[76:77]
	v_add_f64 v[40:41], v[84:85], -v[56:57]
	v_fma_f64 v[46:47], s[16:17], v[40:41], v[42:43]
	v_add_f64 v[48:49], v[90:91], -v[64:65]
	v_add_f64 v[50:51], v[54:55], -v[88:89]
	v_add_f64 v[74:75], v[62:63], -v[70:71]
	v_fmac_f64_e32 v[42:43], s[12:13], v[40:41]
	v_fmac_f64_e32 v[46:47], s[18:19], v[48:49]
	v_add_f64 v[50:51], v[50:51], v[74:75]
	v_fmac_f64_e32 v[42:43], s[2:3], v[48:49]
	v_fmac_f64_e32 v[46:47], s[14:15], v[50:51]
	;; [unrolled: 1-line block ×3, first 2 shown]
	v_add_f64 v[50:51], v[54:55], v[62:63]
	v_fmac_f64_e32 v[76:77], -0.5, v[50:51]
	v_fma_f64 v[50:51], s[12:13], v[48:49], v[76:77]
	v_fmac_f64_e32 v[76:77], s[16:17], v[48:49]
	v_fmac_f64_e32 v[50:51], s[18:19], v[40:41]
	;; [unrolled: 1-line block ×3, first 2 shown]
	v_add_f64 v[40:41], v[78:79], v[84:85]
	v_add_f64 v[40:41], v[40:41], v[90:91]
	;; [unrolled: 1-line block ×3, first 2 shown]
	v_add_f64 v[74:75], v[88:89], -v[54:55]
	v_add_f64 v[94:95], v[70:71], -v[62:63]
	v_add_f64 v[48:49], v[40:41], v[56:57]
	v_add_f64 v[40:41], v[90:91], v[64:65]
	;; [unrolled: 1-line block ×3, first 2 shown]
	v_fma_f64 v[40:41], -0.5, v[40:41], v[78:79]
	v_add_f64 v[62:63], v[54:55], -v[62:63]
	v_fmac_f64_e32 v[50:51], s[14:15], v[74:75]
	v_fmac_f64_e32 v[76:77], s[14:15], v[74:75]
	v_fma_f64 v[54:55], s[12:13], v[62:63], v[40:41]
	v_add_f64 v[70:71], v[88:89], -v[70:71]
	v_add_f64 v[74:75], v[84:85], -v[90:91]
	;; [unrolled: 1-line block ×3, first 2 shown]
	v_fmac_f64_e32 v[40:41], s[16:17], v[62:63]
	v_fmac_f64_e32 v[54:55], s[2:3], v[70:71]
	v_add_f64 v[74:75], v[74:75], v[88:89]
	v_fmac_f64_e32 v[40:41], s[18:19], v[70:71]
	v_fmac_f64_e32 v[54:55], s[14:15], v[74:75]
	v_fmac_f64_e32 v[40:41], s[14:15], v[74:75]
	v_add_f64 v[74:75], v[84:85], v[56:57]
	v_fmac_f64_e32 v[78:79], -0.5, v[74:75]
	v_fma_f64 v[88:89], s[16:17], v[70:71], v[78:79]
	v_add_f64 v[74:75], v[90:91], -v[84:85]
	v_add_f64 v[56:57], v[64:65], -v[56:57]
	v_fmac_f64_e32 v[78:79], s[12:13], v[70:71]
	v_fmac_f64_e32 v[88:89], s[2:3], v[62:63]
	v_add_f64 v[56:57], v[74:75], v[56:57]
	v_fmac_f64_e32 v[78:79], s[18:19], v[62:63]
	v_fmac_f64_e32 v[88:89], s[14:15], v[56:57]
	;; [unrolled: 1-line block ×3, first 2 shown]
	v_add_f64 v[56:57], v[80:81], v[86:87]
	v_add_f64 v[56:57], v[56:57], v[92:93]
	;; [unrolled: 1-line block ×5, first 2 shown]
	v_fma_f64 v[74:75], -0.5, v[56:57], v[80:81]
	v_add_f64 v[56:57], v[82:83], -v[72:73]
	v_fma_f64 v[62:63], s[16:17], v[56:57], v[74:75]
	v_add_f64 v[64:65], v[68:69], -v[60:61]
	v_add_f64 v[70:71], v[86:87], -v[92:93]
	;; [unrolled: 1-line block ×3, first 2 shown]
	v_fmac_f64_e32 v[74:75], s[12:13], v[56:57]
	v_fmac_f64_e32 v[62:63], s[18:19], v[64:65]
	v_add_f64 v[70:71], v[70:71], v[90:91]
	v_fmac_f64_e32 v[74:75], s[2:3], v[64:65]
	v_fmac_f64_e32 v[62:63], s[14:15], v[70:71]
	;; [unrolled: 1-line block ×3, first 2 shown]
	v_add_f64 v[70:71], v[86:87], v[58:59]
	v_fmac_f64_e32 v[80:81], -0.5, v[70:71]
	v_fma_f64 v[70:71], s[12:13], v[64:65], v[80:81]
	v_fmac_f64_e32 v[80:81], s[16:17], v[64:65]
	v_fmac_f64_e32 v[70:71], s[18:19], v[56:57]
	;; [unrolled: 1-line block ×3, first 2 shown]
	v_add_f64 v[56:57], v[52:53], v[82:83]
	v_add_f64 v[90:91], v[92:93], -v[86:87]
	v_add_f64 v[94:95], v[66:67], -v[58:59]
	v_add_f64 v[56:57], v[56:57], v[68:69]
	v_add_f64 v[90:91], v[90:91], v[94:95]
	;; [unrolled: 1-line block ×3, first 2 shown]
	v_fmac_f64_e32 v[70:71], s[14:15], v[90:91]
	v_fmac_f64_e32 v[80:81], s[14:15], v[90:91]
	v_add_f64 v[90:91], v[56:57], v[72:73]
	v_add_f64 v[56:57], v[68:69], v[60:61]
	v_fma_f64 v[94:95], -0.5, v[56:57], v[52:53]
	v_add_f64 v[56:57], v[86:87], -v[58:59]
	v_fma_f64 v[86:87], s[12:13], v[56:57], v[94:95]
	v_add_f64 v[58:59], v[92:93], -v[66:67]
	v_add_f64 v[64:65], v[82:83], -v[68:69]
	v_add_f64 v[66:67], v[72:73], -v[60:61]
	v_fmac_f64_e32 v[94:95], s[16:17], v[56:57]
	v_fmac_f64_e32 v[86:87], s[2:3], v[58:59]
	v_add_f64 v[64:65], v[64:65], v[66:67]
	v_fmac_f64_e32 v[94:95], s[18:19], v[58:59]
	v_fmac_f64_e32 v[86:87], s[14:15], v[64:65]
	;; [unrolled: 1-line block ×3, first 2 shown]
	v_add_f64 v[64:65], v[82:83], v[72:73]
	v_fmac_f64_e32 v[52:53], -0.5, v[64:65]
	v_fma_f64 v[66:67], s[16:17], v[58:59], v[52:53]
	v_add_f64 v[64:65], v[68:69], -v[82:83]
	v_add_f64 v[60:61], v[60:61], -v[72:73]
	v_fmac_f64_e32 v[52:53], s[12:13], v[58:59]
	v_fmac_f64_e32 v[66:67], s[2:3], v[56:57]
	v_add_f64 v[60:61], v[64:65], v[60:61]
	v_fmac_f64_e32 v[52:53], s[18:19], v[56:57]
	v_fmac_f64_e32 v[66:67], s[14:15], v[60:61]
	;; [unrolled: 1-line block ×3, first 2 shown]
	v_mul_f64 v[82:83], v[86:87], s[18:19]
	v_mul_f64 v[92:93], v[66:67], s[16:17]
	;; [unrolled: 1-line block ×8, first 2 shown]
	v_add_f64 v[56:57], v[44:45], v[84:85]
	v_fmac_f64_e32 v[82:83], s[24:25], v[62:63]
	v_fmac_f64_e32 v[92:93], s[14:15], v[70:71]
	;; [unrolled: 1-line block ×4, first 2 shown]
	v_add_f64 v[58:59], v[48:49], v[90:91]
	v_fmac_f64_e32 v[86:87], s[2:3], v[62:63]
	v_fmac_f64_e32 v[100:101], s[12:13], v[70:71]
	;; [unrolled: 1-line block ×4, first 2 shown]
	v_add_f64 v[60:61], v[46:47], v[82:83]
	v_add_f64 v[64:65], v[50:51], v[92:93]
	;; [unrolled: 1-line block ×8, first 2 shown]
	v_add_f64 v[44:45], v[44:45], -v[84:85]
	v_add_f64 v[52:53], v[46:47], -v[82:83]
	;; [unrolled: 1-line block ×10, first 2 shown]
	ds_write_b128 v137, v[56:59]
	ds_write_b128 v137, v[60:63] offset:160
	ds_write_b128 v137, v[64:67] offset:320
	;; [unrolled: 1-line block ×9, first 2 shown]
	s_waitcnt lgkmcnt(0)
	; wave barrier
	s_waitcnt lgkmcnt(0)
	ds_read_b128 v[40:43], v137
	v_mad_u64_u32 v[44:45], s[0:1], s7, v112, v[118:119]
	v_mov_b32_e32 v117, v44
	ds_read_b128 v[44:47], v137 offset:160
	s_waitcnt lgkmcnt(1)
	v_mul_f64 v[48:49], v[38:39], v[42:43]
	s_mov_b32 s0, 0x47ae147b
	v_mul_f64 v[38:39], v[38:39], v[40:41]
	v_fmac_f64_e32 v[48:49], v[36:37], v[40:41]
	s_mov_b32 s1, 0x3f847ae1
	v_fma_f64 v[36:37], v[36:37], v[42:43], -v[38:39]
	v_mad_u64_u32 v[38:39], s[2:3], s4, v136, 0
	v_mul_f64 v[50:51], v[36:37], s[0:1]
	v_mov_b32_e32 v36, v39
	v_mad_u64_u32 v[36:37], s[2:3], s5, v136, v[36:37]
	v_mov_b32_e32 v39, v36
	v_lshl_add_u64 v[36:37], v[116:117], 4, v[114:115]
	v_lshl_add_u64 v[42:43], v[38:39], 4, v[36:37]
	s_waitcnt lgkmcnt(0)
	v_mul_f64 v[38:39], v[26:27], v[46:47]
	v_mul_f64 v[26:27], v[26:27], v[44:45]
	v_fmac_f64_e32 v[38:39], v[24:25], v[44:45]
	v_fma_f64 v[24:25], v[24:25], v[46:47], -v[26:27]
	v_mul_f64 v[40:41], v[24:25], s[0:1]
	v_mad_u64_u32 v[46:47], s[2:3], s4, v113, v[42:43]
	ds_read_b128 v[24:27], v137 offset:320
	s_mul_i32 s2, s5, 0xa0
	v_mul_f64 v[48:49], v[48:49], s[0:1]
	v_mul_f64 v[38:39], v[38:39], s[0:1]
	v_add_u32_e32 v47, s2, v47
	global_store_dwordx4 v[42:43], v[48:51], off
	global_store_dwordx4 v[46:47], v[38:41], off
	ds_read_b128 v[38:41], v137 offset:480
	s_waitcnt lgkmcnt(1)
	v_mul_f64 v[42:43], v[34:35], v[26:27]
	v_fmac_f64_e32 v[42:43], v[32:33], v[24:25]
	v_mul_f64 v[24:25], v[34:35], v[24:25]
	v_fma_f64 v[24:25], v[32:33], v[26:27], -v[24:25]
	v_mul_f64 v[44:45], v[24:25], s[0:1]
	s_waitcnt lgkmcnt(0)
	v_mul_f64 v[24:25], v[22:23], v[40:41]
	v_mul_f64 v[22:23], v[22:23], v[38:39]
	v_mad_u64_u32 v[32:33], s[6:7], s4, v113, v[46:47]
	v_fmac_f64_e32 v[24:25], v[20:21], v[38:39]
	v_fma_f64 v[20:21], v[20:21], v[40:41], -v[22:23]
	v_add_u32_e32 v33, s2, v33
	v_mul_f64 v[26:27], v[20:21], s[0:1]
	ds_read_b128 v[20:23], v137 offset:640
	v_mad_u64_u32 v[38:39], s[6:7], s4, v113, v[32:33]
	v_mul_f64 v[42:43], v[42:43], s[0:1]
	v_mul_f64 v[24:25], v[24:25], s[0:1]
	v_add_u32_e32 v39, s2, v39
	global_store_dwordx4 v[32:33], v[42:45], off
	global_store_dwordx4 v[38:39], v[24:27], off
	ds_read_b128 v[24:27], v137 offset:800
	s_waitcnt lgkmcnt(1)
	v_mul_f64 v[32:33], v[30:31], v[22:23]
	v_fmac_f64_e32 v[32:33], v[28:29], v[20:21]
	v_mul_f64 v[20:21], v[30:31], v[20:21]
	v_fma_f64 v[20:21], v[28:29], v[22:23], -v[20:21]
	v_mul_f64 v[34:35], v[20:21], s[0:1]
	s_waitcnt lgkmcnt(0)
	v_mul_f64 v[20:21], v[14:15], v[26:27]
	v_mul_f64 v[14:15], v[14:15], v[24:25]
	v_mad_u64_u32 v[28:29], s[6:7], s4, v113, v[38:39]
	v_fmac_f64_e32 v[20:21], v[12:13], v[24:25]
	v_fma_f64 v[12:13], v[12:13], v[26:27], -v[14:15]
	v_mul_f64 v[32:33], v[32:33], s[0:1]
	v_add_u32_e32 v29, s2, v29
	v_mul_f64 v[22:23], v[12:13], s[0:1]
	ds_read_b128 v[12:15], v137 offset:960
	global_store_dwordx4 v[28:29], v[32:35], off
	v_mad_u64_u32 v[28:29], s[6:7], s4, v113, v[28:29]
	v_mul_f64 v[20:21], v[20:21], s[0:1]
	v_add_u32_e32 v29, s2, v29
	global_store_dwordx4 v[28:29], v[20:23], off
	ds_read_b128 v[20:23], v137 offset:1120
	s_waitcnt lgkmcnt(1)
	v_mul_f64 v[24:25], v[18:19], v[14:15]
	v_fmac_f64_e32 v[24:25], v[16:17], v[12:13]
	v_mul_f64 v[12:13], v[18:19], v[12:13]
	v_fma_f64 v[12:13], v[16:17], v[14:15], -v[12:13]
	v_mul_f64 v[26:27], v[12:13], s[0:1]
	s_waitcnt lgkmcnt(0)
	v_mul_f64 v[12:13], v[6:7], v[22:23]
	v_mul_f64 v[6:7], v[6:7], v[20:21]
	v_fmac_f64_e32 v[12:13], v[4:5], v[20:21]
	v_fma_f64 v[4:5], v[4:5], v[22:23], -v[6:7]
	v_mul_f64 v[14:15], v[4:5], s[0:1]
	ds_read_b128 v[4:7], v137 offset:1280
	v_mad_u64_u32 v[16:17], s[6:7], s4, v113, v[28:29]
	v_add_u32_e32 v17, s2, v17
	v_mad_u64_u32 v[20:21], s[6:7], s4, v113, v[16:17]
	v_mul_f64 v[24:25], v[24:25], s[0:1]
	v_mul_f64 v[12:13], v[12:13], s[0:1]
	v_add_u32_e32 v21, s2, v21
	global_store_dwordx4 v[16:17], v[24:27], off
	global_store_dwordx4 v[20:21], v[12:15], off
	ds_read_b128 v[12:15], v137 offset:1440
	s_waitcnt lgkmcnt(1)
	v_mul_f64 v[16:17], v[10:11], v[6:7]
	v_fmac_f64_e32 v[16:17], v[8:9], v[4:5]
	v_mul_f64 v[4:5], v[10:11], v[4:5]
	v_fma_f64 v[4:5], v[8:9], v[6:7], -v[4:5]
	v_mul_f64 v[18:19], v[4:5], s[0:1]
	v_mad_u64_u32 v[4:5], s[2:3], s4, v134, 0
	v_mov_b32_e32 v6, v5
	v_mad_u64_u32 v[6:7], s[2:3], s5, v134, v[6:7]
	v_mov_b32_e32 v5, v6
	v_mul_f64 v[16:17], v[16:17], s[0:1]
	v_lshl_add_u64 v[4:5], v[4:5], 4, v[36:37]
	global_store_dwordx4 v[4:5], v[16:19], off
	s_waitcnt lgkmcnt(0)
	v_mul_f64 v[4:5], v[2:3], v[14:15]
	v_mul_f64 v[2:3], v[2:3], v[12:13]
	v_fmac_f64_e32 v[4:5], v[0:1], v[12:13]
	v_fma_f64 v[0:1], v[0:1], v[14:15], -v[2:3]
	v_mul_f64 v[4:5], v[4:5], s[0:1]
	v_mul_f64 v[6:7], v[0:1], s[0:1]
	v_mad_u64_u32 v[0:1], s[0:1], s4, v135, v[20:21]
	s_mul_i32 s0, s5, 0x140
	s_nop 0
	v_add_u32_e32 v1, s0, v1
	global_store_dwordx4 v[0:1], v[4:7], off
.LBB0_2:
	s_endpgm
	.section	.rodata,"a",@progbits
	.p2align	6, 0x0
	.amdhsa_kernel bluestein_single_back_len100_dim1_dp_op_CI_CI
		.amdhsa_group_segment_fixed_size 9600
		.amdhsa_private_segment_fixed_size 0
		.amdhsa_kernarg_size 104
		.amdhsa_user_sgpr_count 2
		.amdhsa_user_sgpr_dispatch_ptr 0
		.amdhsa_user_sgpr_queue_ptr 0
		.amdhsa_user_sgpr_kernarg_segment_ptr 1
		.amdhsa_user_sgpr_dispatch_id 0
		.amdhsa_user_sgpr_kernarg_preload_length 0
		.amdhsa_user_sgpr_kernarg_preload_offset 0
		.amdhsa_user_sgpr_private_segment_size 0
		.amdhsa_uses_dynamic_stack 0
		.amdhsa_enable_private_segment 0
		.amdhsa_system_sgpr_workgroup_id_x 1
		.amdhsa_system_sgpr_workgroup_id_y 0
		.amdhsa_system_sgpr_workgroup_id_z 0
		.amdhsa_system_sgpr_workgroup_info 0
		.amdhsa_system_vgpr_workitem_id 0
		.amdhsa_next_free_vgpr 158
		.amdhsa_next_free_sgpr 27
		.amdhsa_accum_offset 160
		.amdhsa_reserve_vcc 1
		.amdhsa_float_round_mode_32 0
		.amdhsa_float_round_mode_16_64 0
		.amdhsa_float_denorm_mode_32 3
		.amdhsa_float_denorm_mode_16_64 3
		.amdhsa_dx10_clamp 1
		.amdhsa_ieee_mode 1
		.amdhsa_fp16_overflow 0
		.amdhsa_tg_split 0
		.amdhsa_exception_fp_ieee_invalid_op 0
		.amdhsa_exception_fp_denorm_src 0
		.amdhsa_exception_fp_ieee_div_zero 0
		.amdhsa_exception_fp_ieee_overflow 0
		.amdhsa_exception_fp_ieee_underflow 0
		.amdhsa_exception_fp_ieee_inexact 0
		.amdhsa_exception_int_div_zero 0
	.end_amdhsa_kernel
	.text
.Lfunc_end0:
	.size	bluestein_single_back_len100_dim1_dp_op_CI_CI, .Lfunc_end0-bluestein_single_back_len100_dim1_dp_op_CI_CI
                                        ; -- End function
	.section	.AMDGPU.csdata,"",@progbits
; Kernel info:
; codeLenInByte = 7832
; NumSgprs: 33
; NumVgprs: 158
; NumAgprs: 0
; TotalNumVgprs: 158
; ScratchSize: 0
; MemoryBound: 0
; FloatMode: 240
; IeeeMode: 1
; LDSByteSize: 9600 bytes/workgroup (compile time only)
; SGPRBlocks: 4
; VGPRBlocks: 19
; NumSGPRsForWavesPerEU: 33
; NumVGPRsForWavesPerEU: 158
; AccumOffset: 160
; Occupancy: 3
; WaveLimiterHint : 1
; COMPUTE_PGM_RSRC2:SCRATCH_EN: 0
; COMPUTE_PGM_RSRC2:USER_SGPR: 2
; COMPUTE_PGM_RSRC2:TRAP_HANDLER: 0
; COMPUTE_PGM_RSRC2:TGID_X_EN: 1
; COMPUTE_PGM_RSRC2:TGID_Y_EN: 0
; COMPUTE_PGM_RSRC2:TGID_Z_EN: 0
; COMPUTE_PGM_RSRC2:TIDIG_COMP_CNT: 0
; COMPUTE_PGM_RSRC3_GFX90A:ACCUM_OFFSET: 39
; COMPUTE_PGM_RSRC3_GFX90A:TG_SPLIT: 0
	.text
	.p2alignl 6, 3212836864
	.fill 256, 4, 3212836864
	.type	__hip_cuid_510c1b17ebcb8e6,@object ; @__hip_cuid_510c1b17ebcb8e6
	.section	.bss,"aw",@nobits
	.globl	__hip_cuid_510c1b17ebcb8e6
__hip_cuid_510c1b17ebcb8e6:
	.byte	0                               ; 0x0
	.size	__hip_cuid_510c1b17ebcb8e6, 1

	.ident	"AMD clang version 19.0.0git (https://github.com/RadeonOpenCompute/llvm-project roc-6.4.0 25133 c7fe45cf4b819c5991fe208aaa96edf142730f1d)"
	.section	".note.GNU-stack","",@progbits
	.addrsig
	.addrsig_sym __hip_cuid_510c1b17ebcb8e6
	.amdgpu_metadata
---
amdhsa.kernels:
  - .agpr_count:     0
    .args:
      - .actual_access:  read_only
        .address_space:  global
        .offset:         0
        .size:           8
        .value_kind:     global_buffer
      - .actual_access:  read_only
        .address_space:  global
        .offset:         8
        .size:           8
        .value_kind:     global_buffer
      - .actual_access:  read_only
        .address_space:  global
        .offset:         16
        .size:           8
        .value_kind:     global_buffer
      - .actual_access:  read_only
        .address_space:  global
        .offset:         24
        .size:           8
        .value_kind:     global_buffer
      - .actual_access:  read_only
        .address_space:  global
        .offset:         32
        .size:           8
        .value_kind:     global_buffer
      - .offset:         40
        .size:           8
        .value_kind:     by_value
      - .address_space:  global
        .offset:         48
        .size:           8
        .value_kind:     global_buffer
      - .address_space:  global
        .offset:         56
        .size:           8
        .value_kind:     global_buffer
      - .address_space:  global
        .offset:         64
        .size:           8
        .value_kind:     global_buffer
      - .address_space:  global
        .offset:         72
        .size:           8
        .value_kind:     global_buffer
      - .offset:         80
        .size:           4
        .value_kind:     by_value
      - .address_space:  global
        .offset:         88
        .size:           8
        .value_kind:     global_buffer
      - .address_space:  global
        .offset:         96
        .size:           8
        .value_kind:     global_buffer
    .group_segment_fixed_size: 9600
    .kernarg_segment_align: 8
    .kernarg_segment_size: 104
    .language:       OpenCL C
    .language_version:
      - 2
      - 0
    .max_flat_workgroup_size: 60
    .name:           bluestein_single_back_len100_dim1_dp_op_CI_CI
    .private_segment_fixed_size: 0
    .sgpr_count:     33
    .sgpr_spill_count: 0
    .symbol:         bluestein_single_back_len100_dim1_dp_op_CI_CI.kd
    .uniform_work_group_size: 1
    .uses_dynamic_stack: false
    .vgpr_count:     158
    .vgpr_spill_count: 0
    .wavefront_size: 64
amdhsa.target:   amdgcn-amd-amdhsa--gfx950
amdhsa.version:
  - 1
  - 2
...

	.end_amdgpu_metadata
